;; amdgpu-corpus repo=ROCm/rocFFT kind=compiled arch=gfx950 opt=O3
	.text
	.amdgcn_target "amdgcn-amd-amdhsa--gfx950"
	.amdhsa_code_object_version 6
	.protected	fft_rtc_fwd_len1944_factors_3_3_3_3_8_3_wgs_243_tpt_243_halfLds_sp_ip_CI_unitstride_sbrr_R2C_dirReg ; -- Begin function fft_rtc_fwd_len1944_factors_3_3_3_3_8_3_wgs_243_tpt_243_halfLds_sp_ip_CI_unitstride_sbrr_R2C_dirReg
	.globl	fft_rtc_fwd_len1944_factors_3_3_3_3_8_3_wgs_243_tpt_243_halfLds_sp_ip_CI_unitstride_sbrr_R2C_dirReg
	.p2align	8
	.type	fft_rtc_fwd_len1944_factors_3_3_3_3_8_3_wgs_243_tpt_243_halfLds_sp_ip_CI_unitstride_sbrr_R2C_dirReg,@function
fft_rtc_fwd_len1944_factors_3_3_3_3_8_3_wgs_243_tpt_243_halfLds_sp_ip_CI_unitstride_sbrr_R2C_dirReg: ; @fft_rtc_fwd_len1944_factors_3_3_3_3_8_3_wgs_243_tpt_243_halfLds_sp_ip_CI_unitstride_sbrr_R2C_dirReg
; %bb.0:
	s_load_dwordx2 s[8:9], s[0:1], 0x50
	s_load_dwordx4 s[4:7], s[0:1], 0x0
	s_load_dwordx2 s[10:11], s[0:1], 0x18
	v_mul_u32_u24_e32 v1, 0x10e, v0
	v_add_u32_sdwa v6, s2, v1 dst_sel:DWORD dst_unused:UNUSED_PAD src0_sel:DWORD src1_sel:WORD_1
	v_mov_b32_e32 v4, 0
	s_waitcnt lgkmcnt(0)
	v_cmp_lt_u64_e64 s[2:3], s[6:7], 2
	v_mov_b32_e32 v7, v4
	s_and_b64 vcc, exec, s[2:3]
	v_mov_b64_e32 v[2:3], 0
	s_cbranch_vccnz .LBB0_8
; %bb.1:
	s_load_dwordx2 s[2:3], s[0:1], 0x10
	s_add_u32 s12, s10, 8
	s_addc_u32 s13, s11, 0
	s_mov_b64 s[14:15], 1
	v_mov_b64_e32 v[2:3], 0
	s_waitcnt lgkmcnt(0)
	s_add_u32 s16, s2, 8
	s_addc_u32 s17, s3, 0
.LBB0_2:                                ; =>This Inner Loop Header: Depth=1
	s_load_dwordx2 s[18:19], s[16:17], 0x0
                                        ; implicit-def: $vgpr8_vgpr9
	s_waitcnt lgkmcnt(0)
	v_or_b32_e32 v5, s19, v7
	v_cmp_ne_u64_e32 vcc, 0, v[4:5]
	s_and_saveexec_b64 s[2:3], vcc
	s_xor_b64 s[20:21], exec, s[2:3]
	s_cbranch_execz .LBB0_4
; %bb.3:                                ;   in Loop: Header=BB0_2 Depth=1
	v_cvt_f32_u32_e32 v1, s18
	v_cvt_f32_u32_e32 v5, s19
	s_sub_u32 s2, 0, s18
	s_subb_u32 s3, 0, s19
	v_fmac_f32_e32 v1, 0x4f800000, v5
	v_rcp_f32_e32 v1, v1
	s_nop 0
	v_mul_f32_e32 v1, 0x5f7ffffc, v1
	v_mul_f32_e32 v5, 0x2f800000, v1
	v_trunc_f32_e32 v5, v5
	v_fmac_f32_e32 v1, 0xcf800000, v5
	v_cvt_u32_f32_e32 v5, v5
	v_cvt_u32_f32_e32 v1, v1
	v_mul_lo_u32 v8, s2, v5
	v_mul_hi_u32 v10, s2, v1
	v_mul_lo_u32 v9, s3, v1
	v_add_u32_e32 v10, v10, v8
	v_mul_lo_u32 v12, s2, v1
	v_add_u32_e32 v13, v10, v9
	v_mul_hi_u32 v8, v1, v12
	v_mul_hi_u32 v11, v1, v13
	v_mul_lo_u32 v10, v1, v13
	v_mov_b32_e32 v9, v4
	v_lshl_add_u64 v[8:9], v[8:9], 0, v[10:11]
	v_mul_hi_u32 v11, v5, v12
	v_mul_lo_u32 v12, v5, v12
	v_add_co_u32_e32 v8, vcc, v8, v12
	v_mul_hi_u32 v10, v5, v13
	s_nop 0
	v_addc_co_u32_e32 v8, vcc, v9, v11, vcc
	v_mov_b32_e32 v9, v4
	s_nop 0
	v_addc_co_u32_e32 v11, vcc, 0, v10, vcc
	v_mul_lo_u32 v10, v5, v13
	v_lshl_add_u64 v[8:9], v[8:9], 0, v[10:11]
	v_add_co_u32_e32 v1, vcc, v1, v8
	v_mul_lo_u32 v10, s2, v1
	s_nop 0
	v_addc_co_u32_e32 v5, vcc, v5, v9, vcc
	v_mul_lo_u32 v8, s2, v5
	v_mul_hi_u32 v9, s2, v1
	v_add_u32_e32 v8, v9, v8
	v_mul_lo_u32 v9, s3, v1
	v_add_u32_e32 v12, v8, v9
	v_mul_hi_u32 v14, v5, v10
	v_mul_lo_u32 v15, v5, v10
	v_mul_hi_u32 v9, v1, v12
	v_mul_lo_u32 v8, v1, v12
	v_mul_hi_u32 v10, v1, v10
	v_mov_b32_e32 v11, v4
	v_lshl_add_u64 v[8:9], v[10:11], 0, v[8:9]
	v_add_co_u32_e32 v8, vcc, v8, v15
	v_mul_hi_u32 v13, v5, v12
	s_nop 0
	v_addc_co_u32_e32 v8, vcc, v9, v14, vcc
	v_mul_lo_u32 v10, v5, v12
	s_nop 0
	v_addc_co_u32_e32 v11, vcc, 0, v13, vcc
	v_mov_b32_e32 v9, v4
	v_lshl_add_u64 v[8:9], v[8:9], 0, v[10:11]
	v_add_co_u32_e32 v1, vcc, v1, v8
	v_mul_hi_u32 v10, v6, v1
	s_nop 0
	v_addc_co_u32_e32 v5, vcc, v5, v9, vcc
	v_mad_u64_u32 v[8:9], s[2:3], v6, v5, 0
	v_mov_b32_e32 v11, v4
	v_lshl_add_u64 v[8:9], v[10:11], 0, v[8:9]
	v_mad_u64_u32 v[12:13], s[2:3], v7, v1, 0
	v_add_co_u32_e32 v1, vcc, v8, v12
	v_mad_u64_u32 v[10:11], s[2:3], v7, v5, 0
	s_nop 0
	v_addc_co_u32_e32 v8, vcc, v9, v13, vcc
	v_mov_b32_e32 v9, v4
	s_nop 0
	v_addc_co_u32_e32 v11, vcc, 0, v11, vcc
	v_lshl_add_u64 v[8:9], v[8:9], 0, v[10:11]
	v_mul_lo_u32 v1, s19, v8
	v_mul_lo_u32 v5, s18, v9
	v_mad_u64_u32 v[10:11], s[2:3], s18, v8, 0
	v_add3_u32 v1, v11, v5, v1
	v_sub_u32_e32 v5, v7, v1
	v_mov_b32_e32 v11, s19
	v_sub_co_u32_e32 v14, vcc, v6, v10
	v_lshl_add_u64 v[12:13], v[8:9], 0, 1
	s_nop 0
	v_subb_co_u32_e64 v5, s[2:3], v5, v11, vcc
	v_subrev_co_u32_e64 v10, s[2:3], s18, v14
	v_subb_co_u32_e32 v1, vcc, v7, v1, vcc
	s_nop 0
	v_subbrev_co_u32_e64 v5, s[2:3], 0, v5, s[2:3]
	v_cmp_le_u32_e64 s[2:3], s19, v5
	v_cmp_le_u32_e32 vcc, s19, v1
	s_nop 0
	v_cndmask_b32_e64 v11, 0, -1, s[2:3]
	v_cmp_le_u32_e64 s[2:3], s18, v10
	s_nop 1
	v_cndmask_b32_e64 v10, 0, -1, s[2:3]
	v_cmp_eq_u32_e64 s[2:3], s19, v5
	s_nop 1
	v_cndmask_b32_e64 v5, v11, v10, s[2:3]
	v_lshl_add_u64 v[10:11], v[8:9], 0, 2
	v_cmp_ne_u32_e64 s[2:3], 0, v5
	s_nop 1
	v_cndmask_b32_e64 v5, v13, v11, s[2:3]
	v_cndmask_b32_e64 v11, 0, -1, vcc
	v_cmp_le_u32_e32 vcc, s18, v14
	s_nop 1
	v_cndmask_b32_e64 v13, 0, -1, vcc
	v_cmp_eq_u32_e32 vcc, s19, v1
	s_nop 1
	v_cndmask_b32_e32 v1, v11, v13, vcc
	v_cmp_ne_u32_e32 vcc, 0, v1
	v_cndmask_b32_e64 v1, v12, v10, s[2:3]
	s_nop 0
	v_cndmask_b32_e32 v9, v9, v5, vcc
	v_cndmask_b32_e32 v8, v8, v1, vcc
.LBB0_4:                                ;   in Loop: Header=BB0_2 Depth=1
	s_andn2_saveexec_b64 s[2:3], s[20:21]
	s_cbranch_execz .LBB0_6
; %bb.5:                                ;   in Loop: Header=BB0_2 Depth=1
	v_cvt_f32_u32_e32 v1, s18
	s_sub_i32 s20, 0, s18
	v_rcp_iflag_f32_e32 v1, v1
	s_nop 0
	v_mul_f32_e32 v1, 0x4f7ffffe, v1
	v_cvt_u32_f32_e32 v1, v1
	v_mul_lo_u32 v5, s20, v1
	v_mul_hi_u32 v5, v1, v5
	v_add_u32_e32 v1, v1, v5
	v_mul_hi_u32 v1, v6, v1
	v_mul_lo_u32 v5, v1, s18
	v_sub_u32_e32 v5, v6, v5
	v_add_u32_e32 v8, 1, v1
	v_subrev_u32_e32 v9, s18, v5
	v_cmp_le_u32_e32 vcc, s18, v5
	s_nop 1
	v_cndmask_b32_e32 v5, v5, v9, vcc
	v_cndmask_b32_e32 v1, v1, v8, vcc
	v_add_u32_e32 v8, 1, v1
	v_cmp_le_u32_e32 vcc, s18, v5
	v_mov_b32_e32 v9, v4
	s_nop 0
	v_cndmask_b32_e32 v8, v1, v8, vcc
.LBB0_6:                                ;   in Loop: Header=BB0_2 Depth=1
	s_or_b64 exec, exec, s[2:3]
	v_mad_u64_u32 v[10:11], s[2:3], v8, s18, 0
	s_load_dwordx2 s[2:3], s[12:13], 0x0
	v_mul_lo_u32 v1, v9, s18
	v_mul_lo_u32 v5, v8, s19
	v_add3_u32 v1, v11, v5, v1
	v_sub_co_u32_e32 v5, vcc, v6, v10
	s_add_u32 s14, s14, 1
	s_nop 0
	v_subb_co_u32_e32 v1, vcc, v7, v1, vcc
	s_addc_u32 s15, s15, 0
	s_waitcnt lgkmcnt(0)
	v_mul_lo_u32 v1, s2, v1
	v_mul_lo_u32 v6, s3, v5
	v_mad_u64_u32 v[2:3], s[2:3], s2, v5, v[2:3]
	s_add_u32 s12, s12, 8
	v_add3_u32 v3, v6, v3, v1
	s_addc_u32 s13, s13, 0
	v_mov_b64_e32 v[6:7], s[6:7]
	s_add_u32 s16, s16, 8
	v_cmp_ge_u64_e32 vcc, s[14:15], v[6:7]
	s_addc_u32 s17, s17, 0
	s_cbranch_vccnz .LBB0_9
; %bb.7:                                ;   in Loop: Header=BB0_2 Depth=1
	v_mov_b64_e32 v[6:7], v[8:9]
	s_branch .LBB0_2
.LBB0_8:
	v_mov_b64_e32 v[8:9], v[6:7]
.LBB0_9:
	s_lshl_b64 s[2:3], s[6:7], 3
	s_add_u32 s2, s10, s2
	s_addc_u32 s3, s11, s3
	s_load_dwordx2 s[6:7], s[2:3], 0x0
	s_load_dwordx2 s[10:11], s[0:1], 0x20
	s_mov_b32 s2, 0x10db20b
                                        ; implicit-def: $vgpr12
                                        ; implicit-def: $vgpr14
	s_waitcnt lgkmcnt(0)
	v_mul_lo_u32 v1, s6, v9
	v_mul_lo_u32 v4, s7, v8
	v_mad_u64_u32 v[2:3], s[0:1], s6, v8, v[2:3]
	v_add3_u32 v3, v4, v3, v1
	v_mul_hi_u32 v1, v0, s2
	v_mul_u32_u24_e32 v1, 0xf3, v1
	v_cmp_gt_u64_e64 s[0:1], s[10:11], v[8:9]
	v_cmp_le_u64_e32 vcc, s[10:11], v[8:9]
	v_sub_u32_e32 v8, v0, v1
	s_and_saveexec_b64 s[2:3], vcc
	s_xor_b64 s[2:3], exec, s[2:3]
; %bb.10:
	v_add_u32_e32 v12, 0xf3, v8
	v_add_u32_e32 v14, 0x1e6, v8
; %bb.11:
	s_or_saveexec_b64 s[2:3], s[2:3]
	v_lshl_add_u64 v[10:11], v[2:3], 3, s[8:9]
	v_lshl_add_u32 v34, v8, 3, 0
	s_xor_b64 exec, exec, s[2:3]
	s_cbranch_execz .LBB0_13
; %bb.12:
	v_mov_b32_e32 v9, 0
	v_lshl_add_u64 v[0:1], v[8:9], 3, v[10:11]
	v_add_co_u32_e32 v2, vcc, 0x1000, v0
	v_add_u32_e32 v14, 0x1e6, v8
	s_nop 0
	v_addc_co_u32_e32 v3, vcc, 0, v1, vcc
	v_add_co_u32_e32 v12, vcc, 0x2000, v0
	global_load_dwordx2 v[4:5], v[0:1], off
	global_load_dwordx2 v[6:7], v[0:1], off offset:1944
	global_load_dwordx2 v[16:17], v[0:1], off offset:3888
	;; [unrolled: 1-line block ×3, first 2 shown]
	v_addc_co_u32_e32 v13, vcc, 0, v1, vcc
	v_add_co_u32_e32 v0, vcc, 0x3000, v0
	s_nop 1
	v_addc_co_u32_e32 v1, vcc, 0, v1, vcc
	global_load_dwordx2 v[20:21], v[2:3], off offset:3680
	global_load_dwordx2 v[22:23], v[12:13], off offset:1528
	;; [unrolled: 1-line block ×4, first 2 shown]
	v_add_u32_e32 v0, 0xf00, v34
	v_add_u32_e32 v12, 0xf3, v8
	;; [unrolled: 1-line block ×3, first 2 shown]
	s_waitcnt vmcnt(6)
	ds_write2_b64 v34, v[4:5], v[6:7] offset1:243
	s_waitcnt vmcnt(4)
	ds_write2_b64 v0, v[16:17], v[18:19] offset0:6 offset1:249
	s_waitcnt vmcnt(2)
	ds_write2_b64 v1, v[20:21], v[22:23] offset0:12 offset1:255
	v_add_u32_e32 v0, 0x2d80, v34
	s_waitcnt vmcnt(0)
	ds_write2_b64 v0, v[24:25], v[26:27] offset0:2 offset1:245
.LBB0_13:
	s_or_b64 exec, exec, s[2:3]
	v_add_u32_e32 v0, 0xe00, v34
	v_add_u32_e32 v4, 0x1b80, v34
	s_waitcnt lgkmcnt(0)
	s_barrier
	ds_read2_b64 v[0:3], v0 offset0:38 offset1:200
	ds_read2_b64 v[4:7], v4 offset0:11 offset1:254
	ds_read_b64 v[16:17], v34 offset:14256
	s_mov_b32 s2, 0x3f5db3d7
	ds_read2_b64 v[22:25], v34 offset1:243
	v_mad_i32_i24 v9, v12, 24, 0
	s_waitcnt lgkmcnt(2)
	v_pk_add_f32 v[18:19], v[0:1], v[6:7]
	s_waitcnt lgkmcnt(1)
	v_pk_add_f32 v[20:21], v[6:7], v[16:17]
	;; [unrolled: 2-line block ×3, first 2 shown]
	v_pk_fma_f32 v[20:21], v[20:21], 0.5, v[0:1] op_sel_hi:[1,0,1] neg_lo:[1,0,0] neg_hi:[1,0,0]
	v_pk_add_f32 v[0:1], v[6:7], v[16:17] neg_lo:[0,1] neg_hi:[0,1]
	v_pk_add_f32 v[16:17], v[18:19], v[16:17]
	v_pk_mul_f32 v[6:7], v[0:1], s[2:3] op_sel_hi:[1,0]
	v_add_u32_e32 v0, 0x2880, v34
	ds_read2_b64 v[26:29], v0 offset1:243
	v_lshl_add_u32 v1, v8, 4, v34
	v_pk_add_f32 v[18:19], v[20:21], v[6:7] op_sel:[0,1] op_sel_hi:[1,0]
	v_pk_add_f32 v[20:21], v[20:21], v[6:7] op_sel:[0,1] op_sel_hi:[1,0] neg_lo:[0,1] neg_hi:[0,1]
	v_pk_add_f32 v[6:7], v[24:25], v[4:5]
	s_waitcnt lgkmcnt(0)
	v_pk_add_f32 v[32:33], v[2:3], v[26:27]
	v_pk_add_f32 v[2:3], v[2:3], v[26:27] neg_lo:[0,1] neg_hi:[0,1]
	v_pk_fma_f32 v[22:23], v[32:33], 0.5, v[22:23] op_sel_hi:[1,0,1] neg_lo:[1,0,0] neg_hi:[1,0,0]
	v_pk_mul_f32 v[2:3], v[2:3], s[2:3] op_sel_hi:[1,0]
	v_pk_add_f32 v[30:31], v[30:31], v[26:27]
	v_pk_add_f32 v[26:27], v[22:23], v[2:3] op_sel:[0,1] op_sel_hi:[1,0]
	v_pk_add_f32 v[2:3], v[22:23], v[2:3] op_sel:[0,1] op_sel_hi:[1,0] neg_lo:[0,1] neg_hi:[0,1]
	s_nop 0
	v_mov_b32_e32 v23, v3
	v_mov_b32_e32 v3, v27
	s_barrier
	ds_write_b64 v1, v[2:3] offset:16
	v_pk_add_f32 v[2:3], v[4:5], v[28:29]
	v_pk_add_f32 v[4:5], v[4:5], v[28:29] neg_lo:[0,1] neg_hi:[0,1]
	v_mov_b32_e32 v22, v26
	v_pk_fma_f32 v[2:3], v[2:3], 0.5, v[24:25] op_sel_hi:[1,0,1] neg_lo:[1,0,0] neg_hi:[1,0,0]
	v_pk_mul_f32 v[4:5], v[4:5], s[2:3] op_sel_hi:[1,0]
	ds_write2_b64 v1, v[30:31], v[22:23] offset1:1
	v_pk_add_f32 v[22:23], v[2:3], v[4:5] op_sel:[0,1] op_sel_hi:[1,0]
	v_pk_add_f32 v[2:3], v[2:3], v[4:5] op_sel:[0,1] op_sel_hi:[1,0] neg_lo:[0,1] neg_hi:[0,1]
	s_movk_i32 s2, 0xa2
	v_pk_add_f32 v[6:7], v[6:7], v[28:29]
	v_mov_b32_e32 v4, v22
	v_mov_b32_e32 v5, v3
	;; [unrolled: 1-line block ×3, first 2 shown]
	v_cmp_gt_u32_e64 s[2:3], s2, v8
	ds_write2_b64 v9, v[6:7], v[4:5] offset1:1
	ds_write_b64 v9, v[2:3] offset:16
	s_and_saveexec_b64 s[6:7], s[2:3]
	s_cbranch_execz .LBB0_15
; %bb.14:
	v_mad_i32_i24 v1, v14, 24, 0
	v_mov_b32_e32 v2, v18
	v_mov_b32_e32 v3, v21
	ds_write2_b64 v1, v[16:17], v[2:3] offset1:1
	v_mov_b32_e32 v2, v20
	v_mov_b32_e32 v3, v19
	ds_write_b64 v1, v[2:3] offset:16
.LBB0_15:
	s_or_b64 exec, exec, s[6:7]
	v_lshlrev_b32_e32 v26, 4, v12
	v_sub_u32_e32 v1, v9, v26
	s_waitcnt lgkmcnt(0)
	s_barrier
	ds_read_b64 v[24:25], v34
	ds_read_b64 v[22:23], v1
	v_add_u32_e32 v1, 0x1400, v34
	s_waitcnt lgkmcnt(1)
	ds_read_b32 v25, v34 offset:4
	ds_read2_b64 v[4:7], v1 offset0:8 offset1:251
	ds_read2_b64 v[0:3], v0 offset1:243
	v_lshl_add_u32 v35, v14, 3, 0
	s_and_saveexec_b64 s[6:7], s[2:3]
	s_cbranch_execz .LBB0_17
; %bb.16:
	ds_read_b64 v[18:19], v34 offset:14256
	ds_read_b64 v[28:29], v34 offset:9072
	ds_read_b64 v[16:17], v35
	s_waitcnt lgkmcnt(2)
	v_mov_b32_e32 v20, v18
	s_waitcnt lgkmcnt(1)
	v_mov_b32_e32 v21, v29
	v_mov_b32_e32 v18, v28
.LBB0_17:
	s_or_b64 exec, exec, s[6:7]
	s_movk_i32 s6, 0xab
	v_mul_lo_u16_sdwa v13, v8, s6 dst_sel:DWORD dst_unused:UNUSED_PAD src0_sel:BYTE_0 src1_sel:DWORD
	v_lshrrev_b16_e32 v27, 9, v13
	v_mul_lo_u16_e32 v13, 3, v27
	s_mov_b32 s6, 0xaaab
	v_sub_u16_e32 v33, v8, v13
	v_mul_u32_u24_sdwa v13, v12, s6 dst_sel:DWORD dst_unused:UNUSED_PAD src0_sel:WORD_0 src1_sel:DWORD
	v_lshrrev_b32_e32 v45, 17, v13
	v_mul_lo_u16_e32 v13, 3, v45
	v_sub_u16_e32 v46, v12, v13
	v_mul_u32_u24_sdwa v13, v14, s6 dst_sel:DWORD dst_unused:UNUSED_PAD src0_sel:WORD_0 src1_sel:DWORD
	v_lshrrev_b32_e32 v13, 17, v13
	v_mul_lo_u16_e32 v15, 3, v13
	v_mov_b32_e32 v32, 4
	v_sub_u16_e32 v15, v14, v15
	v_lshlrev_b32_e32 v28, 4, v15
	v_lshlrev_b32_e32 v36, 4, v46
	v_lshlrev_b32_sdwa v32, v32, v33 dst_sel:DWORD dst_unused:UNUSED_PAD src0_sel:DWORD src1_sel:BYTE_0
	global_load_dwordx4 v[28:31], v28, s[4:5]
	v_mov_b32_e32 v44, v19
	global_load_dwordx4 v[40:43], v32, s[4:5]
	v_mov_b32_e32 v32, v21
	;; [unrolled: 2-line block ×3, first 2 shown]
	v_mul_u32_u24_e32 v45, 0x48, v45
	v_lshlrev_b32_sdwa v21, v21, v33 dst_sel:DWORD dst_unused:UNUSED_PAD src0_sel:DWORD src1_sel:BYTE_0
	v_lshlrev_b32_e32 v33, 3, v46
	v_mul_u32_u24_e32 v27, 0x48, v27
	v_add3_u32 v56, 0, v45, v33
	v_add3_u32 v27, 0, v27, v21
	s_mov_b32 s6, 0x3f5db3d7
	v_sub_u32_e32 v26, 0, v26
	s_waitcnt lgkmcnt(0)
	s_barrier
	s_waitcnt vmcnt(2)
	v_pk_mul_f32 v[32:33], v[32:33], v[28:29] op_sel_hi:[0,1]
	v_pk_mul_f32 v[44:45], v[44:45], v[30:31] op_sel_hi:[0,1]
	s_waitcnt vmcnt(1)
	v_pk_mul_f32 v[50:51], v[40:41], v[4:5] op_sel:[0,1]
	v_pk_mul_f32 v[52:53], v[42:43], v[0:1] op_sel:[0,1]
	s_waitcnt vmcnt(0)
	v_pk_mul_f32 v[46:47], v[36:37], v[6:7] op_sel:[0,1]
	v_pk_mul_f32 v[48:49], v[38:39], v[2:3] op_sel:[0,1]
	v_pk_fma_f32 v[54:55], v[18:19], v[28:29], v[32:33] op_sel:[0,0,1] op_sel_hi:[1,1,0] neg_lo:[0,0,1] neg_hi:[0,0,1]
	v_pk_fma_f32 v[18:19], v[18:19], v[28:29], v[32:33] op_sel:[0,0,1] op_sel_hi:[0,1,0]
	v_pk_fma_f32 v[28:29], v[20:21], v[30:31], v[44:45] op_sel:[0,0,1] op_sel_hi:[1,1,0] neg_lo:[0,0,1] neg_hi:[0,0,1]
	v_pk_fma_f32 v[20:21], v[20:21], v[30:31], v[44:45] op_sel:[0,0,1] op_sel_hi:[0,1,0]
	;; [unrolled: 2-line block ×6, first 2 shown]
	v_mov_b32_e32 v55, v19
	v_mov_b32_e32 v29, v21
	;; [unrolled: 1-line block ×6, first 2 shown]
	v_pk_add_f32 v[0:1], v[16:17], v[54:55]
	v_pk_add_f32 v[2:3], v[54:55], v[28:29]
	v_pk_add_f32 v[4:5], v[54:55], v[28:29] neg_lo:[0,1] neg_hi:[0,1]
	v_pk_add_f32 v[20:21], v[36:37], v[24:25]
	v_pk_add_f32 v[40:41], v[36:37], v[38:39]
	v_pk_add_f32 v[36:37], v[36:37], v[38:39] neg_lo:[0,1] neg_hi:[0,1]
	;; [unrolled: 3-line block ×3, first 2 shown]
	v_pk_add_f32 v[18:19], v[0:1], v[28:29]
	v_pk_fma_f32 v[0:1], v[2:3], 0.5, v[16:17] op_sel_hi:[1,0,1] neg_lo:[1,0,0] neg_hi:[1,0,0]
	v_pk_mul_f32 v[2:3], v[4:5], s[6:7] op_sel_hi:[1,0]
	v_pk_fma_f32 v[24:25], v[40:41], 0.5, v[24:25] op_sel_hi:[1,0,1] neg_lo:[1,0,0] neg_hi:[1,0,0]
	v_pk_mul_f32 v[28:29], v[36:37], s[6:7] op_sel_hi:[1,0]
	v_pk_add_f32 v[4:5], v[6:7], v[32:33]
	v_pk_add_f32 v[6:7], v[20:21], v[38:39]
	v_pk_fma_f32 v[22:23], v[42:43], 0.5, v[22:23] op_sel_hi:[1,0,1] neg_lo:[1,0,0] neg_hi:[1,0,0]
	v_pk_mul_f32 v[30:31], v[30:31], s[6:7] op_sel_hi:[1,0]
	v_pk_add_f32 v[16:17], v[0:1], v[2:3] op_sel:[0,1] op_sel_hi:[1,0]
	v_pk_add_f32 v[20:21], v[0:1], v[2:3] op_sel:[0,1] op_sel_hi:[1,0] neg_lo:[0,1] neg_hi:[0,1]
	v_pk_add_f32 v[0:1], v[24:25], v[28:29] op_sel:[0,1] op_sel_hi:[1,0]
	v_pk_add_f32 v[2:3], v[24:25], v[28:29] op_sel:[0,1] op_sel_hi:[1,0] neg_lo:[0,1] neg_hi:[0,1]
	;; [unrolled: 2-line block ×3, first 2 shown]
	v_mov_b32_e32 v28, v0
	v_mov_b32_e32 v29, v3
	;; [unrolled: 1-line block ×6, first 2 shown]
	ds_write2_b64 v27, v[6:7], v[28:29] offset1:3
	ds_write_b64 v27, v[2:3] offset:48
	ds_write2_b64 v56, v[4:5], v[0:1] offset1:3
	ds_write_b64 v56, v[22:23] offset:48
	s_and_saveexec_b64 s[6:7], s[2:3]
	s_cbranch_execz .LBB0_19
; %bb.18:
	v_mul_lo_u16_e32 v0, 9, v13
	v_lshlrev_b32_e32 v1, 3, v15
	v_lshlrev_b32_e32 v0, 3, v0
	v_add3_u32 v2, 0, v1, v0
	v_mov_b32_e32 v0, v16
	v_mov_b32_e32 v1, v21
	ds_write2_b64 v2, v[18:19], v[0:1] offset1:3
	v_mov_b32_e32 v0, v20
	v_mov_b32_e32 v1, v17
	ds_write_b64 v2, v[0:1] offset:48
.LBB0_19:
	s_or_b64 exec, exec, s[6:7]
	v_add_u32_e32 v0, 0x1400, v34
	v_add_u32_e32 v4, 0x2880, v34
	s_waitcnt lgkmcnt(0)
	s_barrier
	ds_read2_b64 v[0:3], v0 offset0:8 offset1:251
	ds_read2_b64 v[4:7], v4 offset1:243
	v_add_u32_e32 v36, v9, v26
	ds_read_b64 v[24:25], v34
	ds_read_b64 v[22:23], v36
	s_and_saveexec_b64 s[6:7], s[2:3]
	s_cbranch_execz .LBB0_21
; %bb.20:
	ds_read_b64 v[16:17], v34 offset:14256
	ds_read_b64 v[26:27], v34 offset:9072
	ds_read_b64 v[18:19], v35
	s_waitcnt lgkmcnt(2)
	v_mov_b32_e32 v20, v16
	s_waitcnt lgkmcnt(1)
	v_mov_b32_e32 v21, v27
	v_mov_b32_e32 v16, v26
.LBB0_21:
	s_or_b64 exec, exec, s[6:7]
	v_mov_b32_e32 v9, 57
	v_mul_lo_u16_sdwa v9, v8, v9 dst_sel:DWORD dst_unused:UNUSED_PAD src0_sel:BYTE_0 src1_sel:DWORD
	v_lshrrev_b16_e32 v15, 9, v9
	v_mul_lo_u16_e32 v9, 9, v15
	s_mov_b32 s6, 0xe38f
	v_sub_u16_e32 v37, v8, v9
	v_mul_u32_u24_sdwa v9, v12, s6 dst_sel:DWORD dst_unused:UNUSED_PAD src0_sel:WORD_0 src1_sel:DWORD
	v_lshrrev_b32_e32 v43, 19, v9
	v_mul_lo_u16_e32 v9, 9, v43
	v_sub_u16_e32 v45, v12, v9
	v_mul_u32_u24_sdwa v9, v14, s6 dst_sel:DWORD dst_unused:UNUSED_PAD src0_sel:WORD_0 src1_sel:DWORD
	v_lshrrev_b32_e32 v9, 19, v9
	v_mul_lo_u16_e32 v13, 9, v9
	v_mov_b32_e32 v38, 4
	v_sub_u16_e32 v13, v14, v13
	v_lshlrev_b32_e32 v26, 4, v13
	v_lshlrev_b32_e32 v30, 4, v45
	v_lshlrev_b32_sdwa v38, v38, v37 dst_sel:DWORD dst_unused:UNUSED_PAD src0_sel:DWORD src1_sel:BYTE_0
	global_load_dwordx4 v[26:29], v26, s[4:5] offset:48
	v_mov_b32_e32 v42, v21
	global_load_dwordx4 v[30:33], v30, s[4:5] offset:48
	v_mov_b32_e32 v21, 3
	;; [unrolled: 2-line block ×3, first 2 shown]
	v_mul_u32_u24_e32 v43, 0xd8, v43
	v_lshlrev_b32_sdwa v21, v21, v37 dst_sel:DWORD dst_unused:UNUSED_PAD src0_sel:DWORD src1_sel:BYTE_0
	v_lshlrev_b32_e32 v37, 3, v45
	v_mul_u32_u24_e32 v15, 0xd8, v15
	v_add3_u32 v37, 0, v43, v37
	v_add3_u32 v15, 0, v15, v21
	s_mov_b32 s6, 0x3f5db3d7
	s_waitcnt lgkmcnt(0)
	s_barrier
	s_waitcnt vmcnt(2)
	v_pk_mul_f32 v[42:43], v[42:43], v[26:27] op_sel_hi:[0,1]
	v_pk_mul_f32 v[44:45], v[44:45], v[28:29] op_sel_hi:[0,1]
	s_waitcnt vmcnt(1)
	v_pk_mul_f32 v[46:47], v[30:31], v[2:3] op_sel:[0,1]
	v_pk_mul_f32 v[48:49], v[32:33], v[6:7] op_sel:[0,1]
	s_waitcnt vmcnt(0)
	v_pk_mul_f32 v[50:51], v[38:39], v[0:1] op_sel:[0,1]
	v_pk_mul_f32 v[52:53], v[40:41], v[4:5] op_sel:[0,1]
	v_pk_fma_f32 v[54:55], v[16:17], v[26:27], v[42:43] op_sel:[0,0,1] op_sel_hi:[1,1,0] neg_lo:[0,0,1] neg_hi:[0,0,1]
	v_pk_fma_f32 v[16:17], v[16:17], v[26:27], v[42:43] op_sel:[0,0,1] op_sel_hi:[0,1,0]
	v_pk_fma_f32 v[26:27], v[20:21], v[28:29], v[44:45] op_sel:[0,0,1] op_sel_hi:[1,1,0] neg_lo:[0,0,1] neg_hi:[0,0,1]
	v_pk_fma_f32 v[20:21], v[20:21], v[28:29], v[44:45] op_sel:[0,0,1] op_sel_hi:[0,1,0]
	;; [unrolled: 2-line block ×6, first 2 shown]
	v_mov_b32_e32 v55, v17
	v_mov_b32_e32 v27, v21
	;; [unrolled: 1-line block ×6, first 2 shown]
	v_pk_add_f32 v[0:1], v[18:19], v[54:55]
	v_pk_add_f32 v[2:3], v[54:55], v[26:27]
	v_pk_add_f32 v[4:5], v[54:55], v[26:27] neg_lo:[0,1] neg_hi:[0,1]
	v_pk_add_f32 v[16:17], v[32:33], v[24:25]
	v_pk_add_f32 v[40:41], v[32:33], v[38:39]
	v_pk_add_f32 v[32:33], v[32:33], v[38:39] neg_lo:[0,1] neg_hi:[0,1]
	;; [unrolled: 3-line block ×3, first 2 shown]
	v_pk_add_f32 v[20:21], v[0:1], v[26:27]
	v_pk_fma_f32 v[0:1], v[2:3], 0.5, v[18:19] op_sel_hi:[1,0,1] neg_lo:[1,0,0] neg_hi:[1,0,0]
	v_pk_mul_f32 v[2:3], v[4:5], s[6:7] op_sel_hi:[1,0]
	v_pk_fma_f32 v[18:19], v[40:41], 0.5, v[24:25] op_sel_hi:[1,0,1] neg_lo:[1,0,0] neg_hi:[1,0,0]
	v_pk_mul_f32 v[26:27], v[32:33], s[6:7] op_sel_hi:[1,0]
	v_pk_add_f32 v[4:5], v[6:7], v[30:31]
	v_pk_add_f32 v[6:7], v[16:17], v[38:39]
	v_pk_fma_f32 v[22:23], v[42:43], 0.5, v[22:23] op_sel_hi:[1,0,1] neg_lo:[1,0,0] neg_hi:[1,0,0]
	v_pk_mul_f32 v[28:29], v[28:29], s[6:7] op_sel_hi:[1,0]
	v_pk_add_f32 v[16:17], v[0:1], v[2:3] op_sel:[0,1] op_sel_hi:[1,0]
	v_pk_add_f32 v[24:25], v[0:1], v[2:3] op_sel:[0,1] op_sel_hi:[1,0] neg_lo:[0,1] neg_hi:[0,1]
	v_pk_add_f32 v[0:1], v[18:19], v[26:27] op_sel:[0,1] op_sel_hi:[1,0]
	v_pk_add_f32 v[2:3], v[18:19], v[26:27] op_sel:[0,1] op_sel_hi:[1,0] neg_lo:[0,1] neg_hi:[0,1]
	;; [unrolled: 2-line block ×3, first 2 shown]
	v_mov_b32_e32 v26, v0
	v_mov_b32_e32 v27, v3
	;; [unrolled: 1-line block ×6, first 2 shown]
	ds_write2_b64 v15, v[6:7], v[26:27] offset1:9
	ds_write_b64 v15, v[2:3] offset:144
	ds_write2_b64 v37, v[4:5], v[0:1] offset1:9
	ds_write_b64 v37, v[22:23] offset:144
	s_and_saveexec_b64 s[6:7], s[2:3]
	s_cbranch_execz .LBB0_23
; %bb.22:
	v_mul_lo_u16_e32 v0, 27, v9
	v_lshlrev_b32_e32 v1, 3, v13
	v_lshlrev_b32_e32 v0, 3, v0
	v_add3_u32 v2, 0, v1, v0
	v_mov_b32_e32 v0, v16
	v_mov_b32_e32 v1, v25
	ds_write2_b64 v2, v[20:21], v[0:1] offset1:9
	v_mov_b32_e32 v0, v24
	v_mov_b32_e32 v1, v17
	ds_write_b64 v2, v[0:1] offset:144
.LBB0_23:
	s_or_b64 exec, exec, s[6:7]
	v_add_u32_e32 v0, 0x1400, v34
	v_add_u32_e32 v4, 0x2880, v34
	s_waitcnt lgkmcnt(0)
	s_barrier
	ds_read2_b64 v[0:3], v0 offset0:8 offset1:251
	ds_read2_b64 v[4:7], v4 offset1:243
	ds_read_b64 v[18:19], v34
	ds_read_b64 v[22:23], v36
	s_and_saveexec_b64 s[6:7], s[2:3]
	s_cbranch_execz .LBB0_25
; %bb.24:
	ds_read_b64 v[16:17], v34 offset:14256
	ds_read_b64 v[26:27], v34 offset:9072
	ds_read_b64 v[20:21], v35
	s_waitcnt lgkmcnt(2)
	v_mov_b32_e32 v24, v16
	s_waitcnt lgkmcnt(1)
	v_mov_b32_e32 v25, v27
	v_mov_b32_e32 v16, v26
.LBB0_25:
	s_or_b64 exec, exec, s[6:7]
	s_movk_i32 s6, 0x2f69
	v_mul_u32_u24_sdwa v13, v12, s6 dst_sel:DWORD dst_unused:UNUSED_PAD src0_sel:WORD_0 src1_sel:DWORD
	v_sub_u16_sdwa v15, v12, v13 dst_sel:DWORD dst_unused:UNUSED_PAD src0_sel:DWORD src1_sel:WORD_1
	v_lshrrev_b16_e32 v15, 1, v15
	v_add_u16_sdwa v13, v15, v13 dst_sel:DWORD dst_unused:UNUSED_PAD src0_sel:DWORD src1_sel:WORD_1
	v_lshrrev_b16_e32 v37, 4, v13
	v_mul_lo_u16_e32 v13, 27, v37
	v_sub_u16_e32 v46, v12, v13
	v_mul_u32_u24_sdwa v13, v14, s6 dst_sel:DWORD dst_unused:UNUSED_PAD src0_sel:WORD_0 src1_sel:DWORD
	v_sub_u16_sdwa v15, v14, v13 dst_sel:DWORD dst_unused:UNUSED_PAD src0_sel:DWORD src1_sel:WORD_1
	v_mov_b32_e32 v9, 19
	v_lshrrev_b16_e32 v15, 1, v15
	v_mul_lo_u16_sdwa v9, v8, v9 dst_sel:DWORD dst_unused:UNUSED_PAD src0_sel:BYTE_0 src1_sel:DWORD
	v_add_u16_sdwa v13, v15, v13 dst_sel:DWORD dst_unused:UNUSED_PAD src0_sel:DWORD src1_sel:WORD_1
	v_lshrrev_b16_e32 v27, 9, v9
	v_lshrrev_b16_e32 v13, 4, v13
	v_mul_lo_u16_e32 v9, 27, v27
	v_mul_lo_u16_e32 v15, 27, v13
	v_sub_u16_e32 v33, v8, v9
	v_mov_b32_e32 v9, 4
	v_sub_u16_e32 v15, v14, v15
	v_lshlrev_b32_e32 v26, 4, v15
	v_lshlrev_b32_sdwa v9, v9, v33 dst_sel:DWORD dst_unused:UNUSED_PAD src0_sel:DWORD src1_sel:BYTE_0
	global_load_dwordx4 v[28:31], v26, s[4:5] offset:192
	global_load_dwordx4 v[42:45], v9, s[4:5] offset:192
	v_lshlrev_b32_e32 v26, 4, v46
	global_load_dwordx4 v[38:41], v26, s[4:5] offset:192
	v_mov_b32_e32 v9, 3
	v_mov_b32_e32 v26, v25
	v_mul_u32_u24_e32 v25, 0x288, v27
	v_lshlrev_b32_sdwa v27, v9, v33 dst_sel:DWORD dst_unused:UNUSED_PAD src0_sel:DWORD src1_sel:BYTE_0
	v_mov_b32_e32 v32, v17
	v_add3_u32 v56, 0, v25, v27
	v_lshlrev_b32_e32 v27, 3, v46
	v_mul_u32_u24_e32 v25, 0x288, v37
	v_add3_u32 v37, 0, v25, v27
	s_mov_b32 s6, 0x3f5db3d7
	s_waitcnt lgkmcnt(0)
	s_barrier
	s_waitcnt vmcnt(2)
	v_pk_mul_f32 v[46:47], v[26:27], v[28:29] op_sel_hi:[0,1]
	v_pk_mul_f32 v[32:33], v[32:33], v[30:31] op_sel_hi:[0,1]
	s_waitcnt vmcnt(1)
	v_pk_mul_f32 v[52:53], v[42:43], v[0:1] op_sel:[0,1]
	s_waitcnt vmcnt(0)
	v_pk_mul_f32 v[48:49], v[38:39], v[2:3] op_sel:[0,1]
	v_pk_mul_f32 v[50:51], v[40:41], v[6:7] op_sel:[0,1]
	;; [unrolled: 1-line block ×3, first 2 shown]
	v_pk_fma_f32 v[26:27], v[16:17], v[28:29], v[46:47] op_sel:[0,0,1] op_sel_hi:[1,1,0] neg_lo:[0,0,1] neg_hi:[0,0,1]
	v_pk_fma_f32 v[16:17], v[16:17], v[28:29], v[46:47] op_sel:[0,0,1] op_sel_hi:[0,1,0]
	v_pk_fma_f32 v[28:29], v[24:25], v[30:31], v[32:33] op_sel:[0,0,1] op_sel_hi:[1,1,0] neg_lo:[0,0,1] neg_hi:[0,0,1]
	v_pk_fma_f32 v[24:25], v[24:25], v[30:31], v[32:33] op_sel:[0,0,1] op_sel_hi:[0,1,0]
	;; [unrolled: 2-line block ×6, first 2 shown]
	v_mov_b32_e32 v27, v17
	v_mov_b32_e32 v29, v25
	;; [unrolled: 1-line block ×6, first 2 shown]
	v_pk_add_f32 v[0:1], v[26:27], v[28:29]
	v_pk_add_f32 v[2:3], v[26:27], v[28:29] neg_lo:[0,1] neg_hi:[0,1]
	v_pk_add_f32 v[4:5], v[22:23], v[30:31]
	v_pk_add_f32 v[16:17], v[38:39], v[40:41]
	v_pk_add_f32 v[24:25], v[38:39], v[40:41] neg_lo:[0,1] neg_hi:[0,1]
	v_pk_add_f32 v[6:7], v[38:39], v[18:19]
	v_pk_add_f32 v[38:39], v[30:31], v[32:33]
	v_pk_add_f32 v[30:31], v[30:31], v[32:33] neg_lo:[0,1] neg_hi:[0,1]
	v_pk_fma_f32 v[0:1], v[0:1], 0.5, v[20:21] op_sel_hi:[1,0,1] neg_lo:[1,0,0] neg_hi:[1,0,0]
	v_pk_mul_f32 v[2:3], v[2:3], s[6:7] op_sel_hi:[1,0]
	v_pk_add_f32 v[4:5], v[4:5], v[32:33]
	v_pk_fma_f32 v[32:33], v[16:17], 0.5, v[18:19] op_sel_hi:[1,0,1] neg_lo:[1,0,0] neg_hi:[1,0,0]
	v_pk_mul_f32 v[24:25], v[24:25], s[6:7] op_sel_hi:[1,0]
	v_pk_fma_f32 v[22:23], v[38:39], 0.5, v[22:23] op_sel_hi:[1,0,1] neg_lo:[1,0,0] neg_hi:[1,0,0]
	v_pk_mul_f32 v[30:31], v[30:31], s[6:7] op_sel_hi:[1,0]
	v_pk_add_f32 v[16:17], v[0:1], v[2:3] op_sel:[0,1] op_sel_hi:[1,0] neg_lo:[0,1] neg_hi:[0,1]
	v_pk_add_f32 v[18:19], v[0:1], v[2:3] op_sel:[0,1] op_sel_hi:[1,0]
	v_pk_add_f32 v[0:1], v[32:33], v[24:25] op_sel:[0,1] op_sel_hi:[1,0]
	v_pk_add_f32 v[2:3], v[32:33], v[24:25] op_sel:[0,1] op_sel_hi:[1,0] neg_lo:[0,1] neg_hi:[0,1]
	v_pk_add_f32 v[6:7], v[6:7], v[40:41]
	v_pk_add_f32 v[24:25], v[22:23], v[30:31] op_sel:[0,1] op_sel_hi:[1,0]
	v_pk_add_f32 v[22:23], v[22:23], v[30:31] op_sel:[0,1] op_sel_hi:[1,0] neg_lo:[0,1] neg_hi:[0,1]
	v_mov_b32_e32 v30, v0
	v_mov_b32_e32 v31, v3
	;; [unrolled: 1-line block ×6, first 2 shown]
	ds_write2_b64 v56, v[6:7], v[30:31] offset1:27
	ds_write_b64 v56, v[2:3] offset:432
	ds_write2_b64 v37, v[4:5], v[0:1] offset1:27
	ds_write_b64 v37, v[22:23] offset:432
	s_and_saveexec_b64 s[6:7], s[2:3]
	s_cbranch_execz .LBB0_27
; %bb.26:
	v_mul_lo_u16_e32 v0, 0x51, v13
	v_lshlrev_b32_e32 v1, 3, v15
	v_lshlrev_b32_e32 v0, 3, v0
	v_add3_u32 v4, 0, v1, v0
	v_pk_add_f32 v[0:1], v[20:21], v[26:27]
	v_mov_b32_e32 v2, v18
	v_pk_add_f32 v[0:1], v[0:1], v[28:29]
	v_mov_b32_e32 v3, v17
	v_mov_b32_e32 v17, v19
	ds_write2_b64 v4, v[0:1], v[2:3] offset1:27
	ds_write_b64 v4, v[16:17] offset:432
.LBB0_27:
	s_or_b64 exec, exec, s[6:7]
	s_movk_i32 s6, 0xcb
	v_mul_lo_u16_sdwa v0, v8, s6 dst_sel:DWORD dst_unused:UNUSED_PAD src0_sel:BYTE_0 src1_sel:DWORD
	v_lshrrev_b16_e32 v13, 14, v0
	v_mul_lo_u16_e32 v0, 0x51, v13
	v_sub_u16_e32 v15, v8, v0
	v_mov_b32_e32 v0, 7
	v_mul_u32_u24_sdwa v0, v15, v0 dst_sel:DWORD dst_unused:UNUSED_PAD src0_sel:BYTE_0 src1_sel:DWORD
	v_lshlrev_b32_e32 v17, 3, v0
	s_waitcnt lgkmcnt(0)
	s_barrier
	global_load_dwordx4 v[0:3], v17, s[4:5] offset:624
	global_load_dwordx4 v[4:7], v17, s[4:5] offset:640
	;; [unrolled: 1-line block ×3, first 2 shown]
	global_load_dwordx2 v[28:29], v17, s[4:5] offset:672
	v_add_u32_e32 v17, 0x1680, v34
	ds_read_b64 v[30:31], v36
	ds_read_b64 v[32:33], v35
	v_add_u32_e32 v18, 0x2c00, v34
	ds_read_b64 v[38:39], v34 offset:13608
	ds_read_b64 v[40:41], v34 offset:9720
	ds_read_b64 v[42:43], v34
	ds_read2_b64 v[24:27], v17 offset0:9 offset1:252
	ds_read2_b32 v[44:45], v18 offset0:100 offset1:101
	s_waitcnt lgkmcnt(6)
	v_mov_b32_e32 v18, v31
	s_mov_b32 s6, 0x3f3504f3
	s_waitcnt lgkmcnt(3)
	v_mov_b32_e32 v46, v41
	s_waitcnt lgkmcnt(1)
	v_mov_b32_e32 v48, v25
	;; [unrolled: 2-line block ×3, first 2 shown]
	v_mul_u32_u24_e32 v13, 0x1440, v13
	v_lshlrev_b32_sdwa v9, v9, v15 dst_sel:DWORD dst_unused:UNUSED_PAD src0_sel:DWORD src1_sel:BYTE_0
	v_add3_u32 v9, 0, v13, v9
	s_barrier
	s_waitcnt vmcnt(3)
	v_pk_mul_f32 v[52:53], v[0:1], v[30:31] op_sel_hi:[1,0]
	v_pk_mul_f32 v[54:55], v[2:3], v[32:33] op_sel:[0,1]
	s_waitcnt vmcnt(2)
	v_pk_mul_f32 v[56:57], v[4:5], v[24:25] op_sel_hi:[1,0]
	v_pk_mul_f32 v[58:59], v[6:7], v[26:27] op_sel:[0,1]
	s_waitcnt vmcnt(1)
	v_pk_mul_f32 v[60:61], v[20:21], v[40:41] op_sel_hi:[1,0]
	v_pk_mul_f32 v[50:51], v[50:51], v[22:23] op_sel_hi:[0,1]
	s_waitcnt vmcnt(0)
	v_pk_mul_f32 v[62:63], v[38:39], v[28:29] op_sel_hi:[1,0]
	v_mov_b32_e32 v64, v29
	v_pk_fma_f32 v[66:67], v[0:1], v[18:19], v[52:53] op_sel:[0,0,1] op_sel_hi:[1,1,0]
	v_pk_fma_f32 v[0:1], v[0:1], v[30:31], v[52:53] op_sel:[0,1,1] op_sel_hi:[1,1,0] neg_lo:[1,0,0] neg_hi:[1,0,0]
	v_pk_fma_f32 v[30:31], v[2:3], v[32:33], v[54:55] op_sel:[0,0,1] op_sel_hi:[1,1,0] neg_lo:[0,0,1] neg_hi:[0,0,1]
	v_pk_fma_f32 v[2:3], v[2:3], v[32:33], v[54:55] op_sel:[0,0,1] op_sel_hi:[1,0,0]
	v_pk_fma_f32 v[32:33], v[4:5], v[48:49], v[56:57] op_sel:[0,0,1] op_sel_hi:[1,1,0]
	v_pk_fma_f32 v[4:5], v[4:5], v[24:25], v[56:57] op_sel:[0,1,1] op_sel_hi:[1,1,0] neg_lo:[1,0,0] neg_hi:[1,0,0]
	v_pk_fma_f32 v[24:25], v[6:7], v[26:27], v[58:59] op_sel:[0,0,1] op_sel_hi:[1,1,0] neg_lo:[0,0,1] neg_hi:[0,0,1]
	v_pk_fma_f32 v[6:7], v[6:7], v[26:27], v[58:59] op_sel:[0,0,1] op_sel_hi:[1,0,0]
	;; [unrolled: 4-line block ×3, first 2 shown]
	v_pk_fma_f32 v[44:45], v[38:39], v[64:65], v[62:63] op_sel:[0,0,1] op_sel_hi:[1,1,0]
	v_pk_fma_f32 v[28:29], v[38:39], v[28:29], v[62:63] op_sel:[0,1,1] op_sel_hi:[1,1,0] neg_lo:[1,0,0] neg_hi:[1,0,0]
	v_mov_b32_e32 v67, v1
	v_mov_b32_e32 v31, v3
	;; [unrolled: 1-line block ×7, first 2 shown]
	v_pk_add_f32 v[0:1], v[42:43], v[24:25] neg_lo:[0,1] neg_hi:[0,1]
	v_pk_add_f32 v[2:3], v[30:31], v[40:41] neg_lo:[0,1] neg_hi:[0,1]
	v_pk_add_f32 v[4:5], v[66:67], v[26:27] neg_lo:[0,1] neg_hi:[0,1]
	v_pk_add_f32 v[6:7], v[32:33], v[44:45] neg_lo:[0,1] neg_hi:[0,1]
	v_pk_fma_f32 v[20:21], v[30:31], 2.0, v[2:3] op_sel_hi:[1,0,1] neg_lo:[0,0,1] neg_hi:[0,0,1]
	v_pk_fma_f32 v[22:23], v[32:33], 2.0, v[6:7] op_sel_hi:[1,0,1] neg_lo:[0,0,1] neg_hi:[0,0,1]
	v_pk_add_f32 v[28:29], v[0:1], v[2:3] op_sel:[0,1] op_sel_hi:[1,0] neg_lo:[0,1] neg_hi:[0,1]
	v_pk_add_f32 v[2:3], v[0:1], v[2:3] op_sel:[0,1] op_sel_hi:[1,0]
	v_pk_add_f32 v[30:31], v[4:5], v[6:7] op_sel:[1,0] op_sel_hi:[0,1] neg_lo:[0,1] neg_hi:[0,1]
	v_pk_add_f32 v[6:7], v[4:5], v[6:7] op_sel:[1,0] op_sel_hi:[0,1]
	v_pk_fma_f32 v[26:27], v[66:67], 2.0, v[4:5] op_sel_hi:[1,0,1] neg_lo:[0,0,1] neg_hi:[0,0,1]
	v_mov_b32_e32 v29, v3
	v_mov_b32_e32 v31, v7
	v_pk_fma_f32 v[24:25], v[42:43], 2.0, v[0:1] op_sel_hi:[1,0,1] neg_lo:[0,0,1] neg_hi:[0,0,1]
	v_pk_add_f32 v[38:39], v[26:27], v[22:23] neg_lo:[0,1] neg_hi:[0,1]
	v_pk_fma_f32 v[0:1], v[0:1], 2.0, v[28:29] op_sel_hi:[1,0,1] neg_lo:[0,0,1] neg_hi:[0,0,1]
	v_pk_fma_f32 v[4:5], v[4:5], 2.0, v[30:31] op_sel:[1,0,0] op_sel_hi:[0,0,1] neg_lo:[0,0,1] neg_hi:[0,0,1]
	v_pk_add_f32 v[32:33], v[24:25], v[20:21] neg_lo:[0,1] neg_hi:[0,1]
	v_pk_fma_f32 v[6:7], v[26:27], 2.0, v[38:39] op_sel_hi:[1,0,1] neg_lo:[0,0,1] neg_hi:[0,0,1]
	v_pk_mul_f32 v[26:27], v[4:5], s[6:7] op_sel_hi:[1,0]
	v_pk_fma_f32 v[4:5], v[4:5], s[6:7], v[0:1] op_sel_hi:[1,0,1] neg_lo:[1,0,0] neg_hi:[1,0,0]
	v_pk_add_f32 v[20:21], v[32:33], v[38:39] neg_lo:[0,1] neg_hi:[0,1]
	v_pk_add_f32 v[22:23], v[32:33], v[38:39]
	v_pk_fma_f32 v[2:3], v[24:25], 2.0, v[32:33] op_sel_hi:[1,0,1] neg_lo:[0,0,1] neg_hi:[0,0,1]
	v_pk_mul_f32 v[24:25], v[30:31], s[6:7] op_sel_hi:[1,0]
	v_pk_fma_f32 v[30:31], v[30:31], s[6:7], v[28:29] op_sel_hi:[1,0,1]
	v_pk_add_f32 v[38:39], v[4:5], v[26:27] op_sel:[0,1] op_sel_hi:[1,0] neg_lo:[0,1] neg_hi:[0,1]
	v_pk_add_f32 v[4:5], v[4:5], v[26:27] op_sel:[0,1] op_sel_hi:[1,0]
	v_pk_add_f32 v[6:7], v[2:3], v[6:7] op_sel:[0,1] op_sel_hi:[1,0] neg_lo:[0,1] neg_hi:[0,1]
	v_mov_b32_e32 v39, v5
	v_pk_add_f32 v[26:27], v[30:31], v[24:25] op_sel:[0,1] op_sel_hi:[1,0] neg_lo:[0,1] neg_hi:[0,1]
	v_pk_add_f32 v[24:25], v[30:31], v[24:25] op_sel:[0,1] op_sel_hi:[1,0]
	v_mov_b32_e32 v21, v23
	v_pk_fma_f32 v[2:3], v[2:3], 2.0, v[6:7] op_sel_hi:[1,0,1] neg_lo:[0,0,1] neg_hi:[0,0,1]
	v_pk_fma_f32 v[0:1], v[0:1], 2.0, v[38:39] op_sel_hi:[1,0,1] neg_lo:[0,0,1] neg_hi:[0,0,1]
	v_mov_b32_e32 v27, v25
	v_pk_fma_f32 v[32:33], v[32:33], 2.0, v[20:21] op_sel_hi:[1,0,1] neg_lo:[0,0,1] neg_hi:[0,0,1]
	ds_write2_b64 v9, v[2:3], v[0:1] offset1:81
	v_pk_fma_f32 v[0:1], v[28:29], 2.0, v[26:27] op_sel_hi:[1,0,1] neg_lo:[0,0,1] neg_hi:[0,0,1]
	ds_write2_b64 v9, v[32:33], v[0:1] offset0:162 offset1:243
	v_add_u32_e32 v0, 0x800, v9
	ds_write2_b64 v0, v[6:7], v[38:39] offset0:68 offset1:149
	v_add_u32_e32 v0, 0xc00, v9
	;; [unrolled: 2-line block ×3, first 2 shown]
	v_add_u32_e32 v4, 0x2880, v34
	s_waitcnt lgkmcnt(0)
	s_barrier
	ds_read2_b64 v[0:3], v0 offset0:8 offset1:251
	ds_read2_b64 v[4:7], v4 offset1:243
	ds_read_b64 v[28:29], v34
	ds_read_b64 v[30:31], v36
	s_and_saveexec_b64 s[6:7], s[2:3]
	s_cbranch_execz .LBB0_29
; %bb.28:
	ds_read_b64 v[18:19], v34 offset:14256
	ds_read_b64 v[24:25], v34 offset:9072
	ds_read_b64 v[20:21], v35
	s_waitcnt lgkmcnt(2)
	v_mov_b32_e32 v16, v18
	s_waitcnt lgkmcnt(1)
	v_mov_b32_e32 v26, v24
	;; [unrolled: 2-line block ×3, first 2 shown]
.LBB0_29:
	s_or_b64 exec, exec, s[6:7]
	v_lshlrev_b32_e32 v32, 1, v8
	v_mov_b32_e32 v33, 0
	v_lshl_add_u64 v[42:43], v[32:33], 3, s[4:5]
	v_lshlrev_b32_e32 v32, 1, v12
	v_lshl_add_u64 v[38:39], v[32:33], 3, s[4:5]
	v_add_co_u32_e32 v38, vcc, 0x1000, v38
	s_movk_i32 s6, 0x1000
	s_nop 0
	v_addc_co_u32_e32 v39, vcc, 0, v39, vcc
	v_add_co_u32_e32 v42, vcc, s6, v42
	global_load_dwordx4 v[38:41], v[38:39], off offset:1064
	s_nop 0
	v_addc_co_u32_e32 v43, vcc, 0, v43, vcc
	global_load_dwordx4 v[42:45], v[42:43], off offset:1064
	s_mov_b32 s6, 0x3f5db3d7
	s_waitcnt lgkmcnt(0)
	s_barrier
	s_waitcnt vmcnt(1)
	v_pk_mul_f32 v[46:47], v[38:39], v[2:3] op_sel:[0,1]
	v_pk_mul_f32 v[48:49], v[40:41], v[6:7] op_sel:[0,1]
	v_pk_fma_f32 v[54:55], v[38:39], v[2:3], v[46:47] op_sel:[0,0,1] op_sel_hi:[1,1,0] neg_lo:[0,0,1] neg_hi:[0,0,1]
	s_waitcnt vmcnt(0)
	v_pk_mul_f32 v[50:51], v[42:43], v[0:1] op_sel:[0,1]
	v_pk_mul_f32 v[52:53], v[44:45], v[4:5] op_sel:[0,1]
	v_pk_fma_f32 v[2:3], v[38:39], v[2:3], v[46:47] op_sel:[0,0,1] op_sel_hi:[1,0,0]
	v_pk_fma_f32 v[38:39], v[40:41], v[6:7], v[48:49] op_sel:[0,0,1] op_sel_hi:[1,1,0] neg_lo:[0,0,1] neg_hi:[0,0,1]
	v_pk_fma_f32 v[6:7], v[40:41], v[6:7], v[48:49] op_sel:[0,0,1] op_sel_hi:[1,0,0]
	v_pk_fma_f32 v[40:41], v[42:43], v[0:1], v[50:51] op_sel:[0,0,1] op_sel_hi:[1,1,0] neg_lo:[0,0,1] neg_hi:[0,0,1]
	;; [unrolled: 2-line block ×3, first 2 shown]
	v_pk_fma_f32 v[4:5], v[44:45], v[4:5], v[52:53] op_sel:[0,0,1] op_sel_hi:[1,0,0]
	v_mov_b32_e32 v41, v1
	v_mov_b32_e32 v43, v5
	;; [unrolled: 1-line block ×4, first 2 shown]
	v_pk_add_f32 v[2:3], v[40:41], v[28:29]
	v_pk_add_f32 v[4:5], v[40:41], v[42:43]
	v_pk_add_f32 v[6:7], v[40:41], v[42:43] neg_lo:[0,1] neg_hi:[0,1]
	v_pk_add_f32 v[40:41], v[54:55], v[38:39]
	v_pk_add_f32 v[44:45], v[54:55], v[38:39] neg_lo:[0,1] neg_hi:[0,1]
	v_pk_add_f32 v[2:3], v[2:3], v[42:43]
	v_pk_fma_f32 v[4:5], v[4:5], 0.5, v[28:29] op_sel_hi:[1,0,1] neg_lo:[1,0,0] neg_hi:[1,0,0]
	v_pk_mul_f32 v[6:7], v[6:7], s[6:7] op_sel_hi:[1,0]
	v_pk_add_f32 v[0:1], v[30:31], v[54:55]
	v_pk_fma_f32 v[28:29], v[40:41], 0.5, v[30:31] op_sel_hi:[1,0,1] neg_lo:[1,0,0] neg_hi:[1,0,0]
	v_pk_mul_f32 v[30:31], v[44:45], s[6:7] op_sel_hi:[1,0]
	ds_write_b64 v34, v[2:3]
	v_pk_add_f32 v[2:3], v[4:5], v[6:7] op_sel:[0,1] op_sel_hi:[1,0]
	v_pk_add_f32 v[4:5], v[4:5], v[6:7] op_sel:[0,1] op_sel_hi:[1,0] neg_lo:[0,1] neg_hi:[0,1]
	v_pk_add_f32 v[6:7], v[28:29], v[30:31] op_sel:[0,1] op_sel_hi:[1,0]
	v_pk_add_f32 v[28:29], v[28:29], v[30:31] op_sel:[0,1] op_sel_hi:[1,0] neg_lo:[0,1] neg_hi:[0,1]
	v_mov_b32_e32 v30, v2
	v_mov_b32_e32 v31, v5
	v_pk_add_f32 v[0:1], v[0:1], v[38:39]
	v_mov_b32_e32 v5, v3
	v_mov_b32_e32 v2, v6
	;; [unrolled: 1-line block ×4, first 2 shown]
	ds_write_b64 v34, v[30:31] offset:5184
	ds_write_b64 v34, v[4:5] offset:10368
	ds_write_b64 v36, v[0:1]
	ds_write_b64 v36, v[2:3] offset:5184
	ds_write_b64 v36, v[28:29] offset:10368
	s_and_saveexec_b64 s[8:9], s[2:3]
	s_cbranch_execz .LBB0_31
; %bb.30:
	v_add_u32_e32 v0, 0xffffff5e, v8
	v_cndmask_b32_e64 v0, v0, v14, s[2:3]
	v_lshlrev_b32_e32 v32, 1, v0
	v_lshl_add_u64 v[0:1], v[32:33], 3, s[4:5]
	v_add_co_u32_e32 v0, vcc, 0x1000, v0
	v_mov_b32_e32 v4, v19
	s_nop 0
	v_addc_co_u32_e32 v1, vcc, 0, v1, vcc
	global_load_dwordx4 v[0:3], v[0:1], off offset:1064
	v_mov_b32_e32 v6, v25
	v_mov_b32_e32 v21, v23
	s_waitcnt vmcnt(0)
	v_pk_mul_f32 v[4:5], v[4:5], v[2:3] op_sel_hi:[0,1]
	v_pk_mul_f32 v[6:7], v[6:7], v[0:1] op_sel_hi:[0,1]
	v_pk_fma_f32 v[18:19], v[26:27], v[0:1], v[6:7] op_sel:[0,0,1] op_sel_hi:[1,1,0] neg_lo:[0,0,1] neg_hi:[0,0,1]
	v_pk_fma_f32 v[0:1], v[26:27], v[0:1], v[6:7] op_sel:[0,0,1] op_sel_hi:[0,1,0]
	v_pk_fma_f32 v[6:7], v[16:17], v[2:3], v[4:5] op_sel:[0,0,1] op_sel_hi:[1,1,0] neg_lo:[0,0,1] neg_hi:[0,0,1]
	v_pk_fma_f32 v[2:3], v[16:17], v[2:3], v[4:5] op_sel:[0,0,1] op_sel_hi:[0,1,0]
	v_mov_b32_e32 v19, v1
	v_mov_b32_e32 v7, v3
	v_pk_add_f32 v[0:1], v[20:21], v[18:19]
	v_pk_add_f32 v[2:3], v[18:19], v[6:7]
	v_pk_add_f32 v[4:5], v[18:19], v[6:7] neg_lo:[0,1] neg_hi:[0,1]
	v_pk_add_f32 v[0:1], v[0:1], v[6:7]
	v_pk_fma_f32 v[2:3], -0.5, v[2:3], v[20:21] op_sel_hi:[0,1,1]
	v_pk_mul_f32 v[4:5], v[4:5], s[6:7] op_sel_hi:[1,0]
	ds_write_b64 v34, v[0:1] offset:3888
	v_pk_add_f32 v[0:1], v[2:3], v[4:5] op_sel:[0,1] op_sel_hi:[1,0]
	v_pk_add_f32 v[2:3], v[2:3], v[4:5] op_sel:[0,1] op_sel_hi:[1,0] neg_lo:[0,1] neg_hi:[0,1]
	v_mov_b32_e32 v4, v0
	v_mov_b32_e32 v5, v3
	v_mov_b32_e32 v3, v1
	ds_write_b64 v34, v[4:5] offset:9072
	ds_write_b64 v34, v[2:3] offset:14256
.LBB0_31:
	s_or_b64 exec, exec, s[8:9]
	s_waitcnt lgkmcnt(0)
	s_barrier
	ds_read_b64 v[4:5], v34
	s_add_u32 s2, s4, 0x3ca8
	v_lshlrev_b32_e32 v0, 3, v8
	s_addc_u32 s3, s5, 0
	v_sub_u32_e32 v6, 0, v0
	v_cmp_ne_u32_e32 vcc, 0, v8
                                        ; implicit-def: $vgpr3
                                        ; implicit-def: $vgpr0_vgpr1
	s_and_saveexec_b64 s[4:5], vcc
	s_xor_b64 s[4:5], exec, s[4:5]
	s_cbranch_execz .LBB0_33
; %bb.32:
	v_mov_b32_e32 v9, 0
	v_lshl_add_u64 v[0:1], v[8:9], 3, s[2:3]
	global_load_dwordx2 v[0:1], v[0:1], off
	ds_read_b64 v[2:3], v6 offset:15552
	v_mov_b32_e32 v17, 0.5
	v_mov_b32_e32 v18, v17
	s_waitcnt lgkmcnt(0)
	v_pk_add_f32 v[20:21], v[2:3], v[4:5]
	v_pk_add_f32 v[2:3], v[4:5], v[2:3] neg_lo:[0,1] neg_hi:[0,1]
	v_mov_b32_e32 v4, v21
	v_mov_b32_e32 v5, v2
	v_pk_mul_f32 v[4:5], v[4:5], 0.5 op_sel_hi:[1,0]
	s_waitcnt vmcnt(0)
	v_mov_b32_e32 v16, v1
	v_mov_b32_e32 v2, v5
	;; [unrolled: 1-line block ×4, first 2 shown]
	v_pk_mul_f32 v[2:3], v[16:17], v[2:3]
	v_pk_mul_f32 v[22:23], v[0:1], v[4:5] op_sel_hi:[0,1]
	v_pk_fma_f32 v[16:17], v[20:21], v[18:19], v[2:3]
	v_pk_fma_f32 v[18:19], v[20:21], v[18:19], v[2:3] neg_lo:[0,0,1] neg_hi:[0,0,1]
	v_pk_fma_f32 v[2:3], v[0:1], v[4:5], v[16:17] op_sel_hi:[0,1,1] neg_lo:[1,0,0] neg_hi:[1,0,0]
	v_pk_fma_f32 v[0:1], v[0:1], v[4:5], v[18:19] op_sel_hi:[0,1,1] neg_lo:[1,0,0] neg_hi:[1,0,0]
	v_add_f32_e32 v2, v16, v22
                                        ; implicit-def: $vgpr4_vgpr5
.LBB0_33:
	s_andn2_saveexec_b64 s[4:5], s[4:5]
	s_cbranch_execz .LBB0_35
; %bb.34:
	s_waitcnt lgkmcnt(0)
	v_mov_b32_e32 v0, v5
	v_pk_add_f32 v[0:1], v[4:5], v[0:1] neg_lo:[0,1] neg_hi:[0,1]
	v_add_f32_e32 v2, v5, v4
	v_mov_b32_e32 v1, 0
	ds_read_b32 v3, v1 offset:7780
	s_waitcnt lgkmcnt(0)
	v_xor_b32_e32 v3, 0x80000000, v3
	ds_write_b32 v1, v3 offset:7780
	v_mov_b32_e32 v3, v1
.LBB0_35:
	s_or_b64 exec, exec, s[4:5]
	v_mov_b32_e32 v13, 0
	s_waitcnt lgkmcnt(0)
	v_lshl_add_u64 v[4:5], v[12:13], 3, s[2:3]
	global_load_dwordx2 v[4:5], v[4:5], off
	v_mov_b32_e32 v15, v13
	v_lshl_add_u64 v[14:15], v[14:15], 3, s[2:3]
	global_load_dwordx2 v[14:15], v[14:15], off
	v_add_u32_e32 v12, 0x2d9, v8
	v_lshl_add_u64 v[16:17], v[12:13], 3, s[2:3]
	global_load_dwordx2 v[16:17], v[16:17], off
	ds_write_b64 v34, v[2:3]
	ds_write_b64 v6, v[0:1] offset:15552
	ds_read_b64 v[0:1], v36
	ds_read_b64 v[2:3], v6 offset:13608
	v_mov_b32_e32 v19, 0.5
	v_mov_b32_e32 v20, v19
	s_waitcnt lgkmcnt(0)
	v_pk_add_f32 v[22:23], v[0:1], v[2:3]
	v_pk_add_f32 v[0:1], v[0:1], v[2:3] neg_lo:[0,1] neg_hi:[0,1]
	v_mov_b32_e32 v2, v23
	v_mov_b32_e32 v3, v0
	v_pk_mul_f32 v[2:3], v[2:3], 0.5 op_sel_hi:[1,0]
	s_waitcnt vmcnt(2)
	v_mov_b32_e32 v21, v5
	v_mov_b32_e32 v23, v2
	;; [unrolled: 1-line block ×4, first 2 shown]
	v_pk_mul_f32 v[20:21], v[22:23], v[20:21]
	s_nop 0
	v_pk_fma_f32 v[22:23], v[18:19], v[0:1], v[20:21] neg_lo:[1,0,0] neg_hi:[1,0,0]
	v_pk_fma_f32 v[0:1], v[18:19], v[0:1], v[20:21]
	v_pk_fma_f32 v[20:21], v[4:5], v[2:3], v[22:23] op_sel_hi:[0,1,1] neg_lo:[1,0,0] neg_hi:[1,0,0]
	v_pk_fma_f32 v[22:23], v[4:5], v[2:3], v[0:1] op_sel_hi:[0,1,1]
	v_pk_fma_f32 v[0:1], v[4:5], v[2:3], v[0:1] op_sel_hi:[0,1,1] neg_lo:[1,0,0] neg_hi:[1,0,0]
	v_mov_b32_e32 v23, v1
	ds_write_b64 v36, v[22:23]
	ds_write_b64 v6, v[20:21] offset:13608
	ds_read_b64 v[0:1], v35
	ds_read_b64 v[2:3], v6 offset:11664
	v_mov_b32_e32 v4, v19
	s_waitcnt vmcnt(1)
	v_mov_b32_e32 v5, v15
	v_mov_b32_e32 v18, v15
	s_waitcnt lgkmcnt(0)
	v_pk_add_f32 v[20:21], v[0:1], v[2:3]
	v_pk_add_f32 v[0:1], v[0:1], v[2:3] neg_lo:[0,1] neg_hi:[0,1]
	v_mov_b32_e32 v2, v21
	v_mov_b32_e32 v3, v0
	v_pk_mul_f32 v[2:3], v[2:3], 0.5 op_sel_hi:[1,0]
	s_nop 0
	v_mov_b32_e32 v21, v2
	v_mov_b32_e32 v0, v3
	v_pk_mul_f32 v[4:5], v[20:21], v[4:5]
	s_nop 0
	v_pk_fma_f32 v[20:21], v[18:19], v[0:1], v[4:5] neg_lo:[1,0,0] neg_hi:[1,0,0]
	v_pk_fma_f32 v[0:1], v[18:19], v[0:1], v[4:5]
	v_pk_fma_f32 v[4:5], v[14:15], v[2:3], v[20:21] op_sel_hi:[0,1,1] neg_lo:[1,0,0] neg_hi:[1,0,0]
	v_pk_fma_f32 v[20:21], v[14:15], v[2:3], v[0:1] op_sel_hi:[0,1,1]
	v_pk_fma_f32 v[0:1], v[14:15], v[2:3], v[0:1] op_sel_hi:[0,1,1] neg_lo:[1,0,0] neg_hi:[1,0,0]
	v_mov_b32_e32 v21, v1
	ds_write_b64 v35, v[20:21]
	ds_write_b64 v6, v[4:5] offset:11664
	ds_read_b64 v[0:1], v34 offset:5832
	ds_read_b64 v[2:3], v6 offset:9720
	v_mov_b32_e32 v4, v19
	s_waitcnt vmcnt(0)
	v_mov_b32_e32 v5, v17
	v_mov_b32_e32 v18, v17
	s_waitcnt lgkmcnt(0)
	v_pk_add_f32 v[14:15], v[0:1], v[2:3]
	v_pk_add_f32 v[0:1], v[0:1], v[2:3] neg_lo:[0,1] neg_hi:[0,1]
	v_mov_b32_e32 v2, v15
	v_mov_b32_e32 v3, v0
	v_pk_mul_f32 v[2:3], v[2:3], 0.5 op_sel_hi:[1,0]
	s_nop 0
	v_mov_b32_e32 v15, v2
	v_mov_b32_e32 v0, v3
	v_pk_mul_f32 v[4:5], v[14:15], v[4:5]
	s_nop 0
	v_pk_fma_f32 v[14:15], v[18:19], v[0:1], v[4:5] neg_lo:[1,0,0] neg_hi:[1,0,0]
	v_pk_fma_f32 v[0:1], v[18:19], v[0:1], v[4:5]
	v_pk_fma_f32 v[4:5], v[16:17], v[2:3], v[14:15] op_sel_hi:[0,1,1] neg_lo:[1,0,0] neg_hi:[1,0,0]
	v_pk_fma_f32 v[14:15], v[16:17], v[2:3], v[0:1] op_sel_hi:[0,1,1]
	v_pk_fma_f32 v[0:1], v[16:17], v[2:3], v[0:1] op_sel_hi:[0,1,1] neg_lo:[1,0,0] neg_hi:[1,0,0]
	v_mov_b32_e32 v15, v1
	ds_write_b64 v34, v[14:15] offset:5832
	ds_write_b64 v6, v[4:5] offset:9720
	s_waitcnt lgkmcnt(0)
	s_barrier
	s_and_saveexec_b64 s[2:3], s[0:1]
	s_cbranch_execz .LBB0_38
; %bb.36:
	ds_read2_b64 v[0:3], v34 offset1:243
	v_add_u32_e32 v4, 0xf00, v34
	ds_read2_b64 v[4:7], v4 offset0:6 offset1:249
	v_mov_b32_e32 v9, v13
	v_lshl_add_u64 v[12:13], v[8:9], 3, v[10:11]
	s_waitcnt lgkmcnt(1)
	global_store_dwordx2 v[12:13], v[0:1], off
	global_store_dwordx2 v[12:13], v[2:3], off offset:1944
	s_waitcnt lgkmcnt(0)
	global_store_dwordx2 v[12:13], v[4:5], off offset:3888
	v_add_u32_e32 v0, 0x1e00, v34
	ds_read2_b64 v[0:3], v0 offset0:12 offset1:255
	v_add_co_u32_e32 v4, vcc, 0x1000, v12
	s_movk_i32 s0, 0xf2
	s_nop 0
	v_addc_co_u32_e32 v5, vcc, 0, v13, vcc
	global_store_dwordx2 v[4:5], v[6:7], off offset:1736
	s_waitcnt lgkmcnt(0)
	global_store_dwordx2 v[4:5], v[0:1], off offset:3680
	v_add_u32_e32 v1, 0x2d80, v34
	ds_read2_b64 v[4:7], v1 offset0:2 offset1:245
	v_add_co_u32_e32 v0, vcc, 0x2000, v12
	s_nop 1
	v_addc_co_u32_e32 v1, vcc, 0, v13, vcc
	global_store_dwordx2 v[0:1], v[2:3], off offset:1528
	s_waitcnt lgkmcnt(0)
	global_store_dwordx2 v[0:1], v[4:5], off offset:3472
	v_add_co_u32_e32 v0, vcc, 0x3000, v12
	s_nop 1
	v_addc_co_u32_e32 v1, vcc, 0, v13, vcc
	v_cmp_eq_u32_e32 vcc, s0, v8
	global_store_dwordx2 v[0:1], v[6:7], off offset:1320
	s_and_b64 exec, exec, vcc
	s_cbranch_execz .LBB0_38
; %bb.37:
	v_mov_b32_e32 v0, 0
	ds_read_b64 v[0:1], v0 offset:15552
	v_add_co_u32_e32 v2, vcc, 0x3000, v10
	s_nop 1
	v_addc_co_u32_e32 v3, vcc, 0, v11, vcc
	s_waitcnt lgkmcnt(0)
	global_store_dwordx2 v[2:3], v[0:1], off offset:3264
.LBB0_38:
	s_endpgm
	.section	.rodata,"a",@progbits
	.p2align	6, 0x0
	.amdhsa_kernel fft_rtc_fwd_len1944_factors_3_3_3_3_8_3_wgs_243_tpt_243_halfLds_sp_ip_CI_unitstride_sbrr_R2C_dirReg
		.amdhsa_group_segment_fixed_size 0
		.amdhsa_private_segment_fixed_size 0
		.amdhsa_kernarg_size 88
		.amdhsa_user_sgpr_count 2
		.amdhsa_user_sgpr_dispatch_ptr 0
		.amdhsa_user_sgpr_queue_ptr 0
		.amdhsa_user_sgpr_kernarg_segment_ptr 1
		.amdhsa_user_sgpr_dispatch_id 0
		.amdhsa_user_sgpr_kernarg_preload_length 0
		.amdhsa_user_sgpr_kernarg_preload_offset 0
		.amdhsa_user_sgpr_private_segment_size 0
		.amdhsa_uses_dynamic_stack 0
		.amdhsa_enable_private_segment 0
		.amdhsa_system_sgpr_workgroup_id_x 1
		.amdhsa_system_sgpr_workgroup_id_y 0
		.amdhsa_system_sgpr_workgroup_id_z 0
		.amdhsa_system_sgpr_workgroup_info 0
		.amdhsa_system_vgpr_workitem_id 0
		.amdhsa_next_free_vgpr 68
		.amdhsa_next_free_sgpr 22
		.amdhsa_accum_offset 68
		.amdhsa_reserve_vcc 1
		.amdhsa_float_round_mode_32 0
		.amdhsa_float_round_mode_16_64 0
		.amdhsa_float_denorm_mode_32 3
		.amdhsa_float_denorm_mode_16_64 3
		.amdhsa_dx10_clamp 1
		.amdhsa_ieee_mode 1
		.amdhsa_fp16_overflow 0
		.amdhsa_tg_split 0
		.amdhsa_exception_fp_ieee_invalid_op 0
		.amdhsa_exception_fp_denorm_src 0
		.amdhsa_exception_fp_ieee_div_zero 0
		.amdhsa_exception_fp_ieee_overflow 0
		.amdhsa_exception_fp_ieee_underflow 0
		.amdhsa_exception_fp_ieee_inexact 0
		.amdhsa_exception_int_div_zero 0
	.end_amdhsa_kernel
	.text
.Lfunc_end0:
	.size	fft_rtc_fwd_len1944_factors_3_3_3_3_8_3_wgs_243_tpt_243_halfLds_sp_ip_CI_unitstride_sbrr_R2C_dirReg, .Lfunc_end0-fft_rtc_fwd_len1944_factors_3_3_3_3_8_3_wgs_243_tpt_243_halfLds_sp_ip_CI_unitstride_sbrr_R2C_dirReg
                                        ; -- End function
	.section	.AMDGPU.csdata,"",@progbits
; Kernel info:
; codeLenInByte = 6940
; NumSgprs: 28
; NumVgprs: 68
; NumAgprs: 0
; TotalNumVgprs: 68
; ScratchSize: 0
; MemoryBound: 0
; FloatMode: 240
; IeeeMode: 1
; LDSByteSize: 0 bytes/workgroup (compile time only)
; SGPRBlocks: 3
; VGPRBlocks: 8
; NumSGPRsForWavesPerEU: 28
; NumVGPRsForWavesPerEU: 68
; AccumOffset: 68
; Occupancy: 7
; WaveLimiterHint : 1
; COMPUTE_PGM_RSRC2:SCRATCH_EN: 0
; COMPUTE_PGM_RSRC2:USER_SGPR: 2
; COMPUTE_PGM_RSRC2:TRAP_HANDLER: 0
; COMPUTE_PGM_RSRC2:TGID_X_EN: 1
; COMPUTE_PGM_RSRC2:TGID_Y_EN: 0
; COMPUTE_PGM_RSRC2:TGID_Z_EN: 0
; COMPUTE_PGM_RSRC2:TIDIG_COMP_CNT: 0
; COMPUTE_PGM_RSRC3_GFX90A:ACCUM_OFFSET: 16
; COMPUTE_PGM_RSRC3_GFX90A:TG_SPLIT: 0
	.text
	.p2alignl 6, 3212836864
	.fill 256, 4, 3212836864
	.type	__hip_cuid_cef4cbbe2afd760e,@object ; @__hip_cuid_cef4cbbe2afd760e
	.section	.bss,"aw",@nobits
	.globl	__hip_cuid_cef4cbbe2afd760e
__hip_cuid_cef4cbbe2afd760e:
	.byte	0                               ; 0x0
	.size	__hip_cuid_cef4cbbe2afd760e, 1

	.ident	"AMD clang version 19.0.0git (https://github.com/RadeonOpenCompute/llvm-project roc-6.4.0 25133 c7fe45cf4b819c5991fe208aaa96edf142730f1d)"
	.section	".note.GNU-stack","",@progbits
	.addrsig
	.addrsig_sym __hip_cuid_cef4cbbe2afd760e
	.amdgpu_metadata
---
amdhsa.kernels:
  - .agpr_count:     0
    .args:
      - .actual_access:  read_only
        .address_space:  global
        .offset:         0
        .size:           8
        .value_kind:     global_buffer
      - .offset:         8
        .size:           8
        .value_kind:     by_value
      - .actual_access:  read_only
        .address_space:  global
        .offset:         16
        .size:           8
        .value_kind:     global_buffer
      - .actual_access:  read_only
        .address_space:  global
        .offset:         24
        .size:           8
        .value_kind:     global_buffer
      - .offset:         32
        .size:           8
        .value_kind:     by_value
      - .actual_access:  read_only
        .address_space:  global
        .offset:         40
        .size:           8
        .value_kind:     global_buffer
      - .actual_access:  read_only
        .address_space:  global
        .offset:         48
        .size:           8
        .value_kind:     global_buffer
      - .offset:         56
        .size:           4
        .value_kind:     by_value
      - .actual_access:  read_only
        .address_space:  global
        .offset:         64
        .size:           8
        .value_kind:     global_buffer
      - .actual_access:  read_only
        .address_space:  global
        .offset:         72
        .size:           8
        .value_kind:     global_buffer
      - .address_space:  global
        .offset:         80
        .size:           8
        .value_kind:     global_buffer
    .group_segment_fixed_size: 0
    .kernarg_segment_align: 8
    .kernarg_segment_size: 88
    .language:       OpenCL C
    .language_version:
      - 2
      - 0
    .max_flat_workgroup_size: 243
    .name:           fft_rtc_fwd_len1944_factors_3_3_3_3_8_3_wgs_243_tpt_243_halfLds_sp_ip_CI_unitstride_sbrr_R2C_dirReg
    .private_segment_fixed_size: 0
    .sgpr_count:     28
    .sgpr_spill_count: 0
    .symbol:         fft_rtc_fwd_len1944_factors_3_3_3_3_8_3_wgs_243_tpt_243_halfLds_sp_ip_CI_unitstride_sbrr_R2C_dirReg.kd
    .uniform_work_group_size: 1
    .uses_dynamic_stack: false
    .vgpr_count:     68
    .vgpr_spill_count: 0
    .wavefront_size: 64
amdhsa.target:   amdgcn-amd-amdhsa--gfx950
amdhsa.version:
  - 1
  - 2
...

	.end_amdgpu_metadata
